;; amdgpu-corpus repo=zjin-lcf/HeCBench kind=compiled arch=gfx1250 opt=O3
	.amdgcn_target "amdgcn-amd-amdhsa--gfx1250"
	.amdhsa_code_object_version 6
	.section	.text._Z9conv3d_s1IfEvPKT_S2_PS0_iiiiiiii,"axG",@progbits,_Z9conv3d_s1IfEvPKT_S2_PS0_iiiiiiii,comdat
	.protected	_Z9conv3d_s1IfEvPKT_S2_PS0_iiiiiiii ; -- Begin function _Z9conv3d_s1IfEvPKT_S2_PS0_iiiiiiii
	.globl	_Z9conv3d_s1IfEvPKT_S2_PS0_iiiiiiii
	.p2align	8
	.type	_Z9conv3d_s1IfEvPKT_S2_PS0_iiiiiiii,@function
_Z9conv3d_s1IfEvPKT_S2_PS0_iiiiiiii:    ; @_Z9conv3d_s1IfEvPKT_S2_PS0_iiiiiiii
; %bb.0:
	s_load_b256 s[4:11], s[0:1], 0x18
	s_lshr_b32 s12, ttmp7, 16
	s_bfe_u32 s13, ttmp6, 0x40008
	s_wait_kmcnt 0x0
	s_cvt_f32_u32 s2, s11
	s_delay_alu instid0(SALU_CYCLE_3) | instskip(SKIP_1) | instid1(SALU_CYCLE_1)
	v_rcp_iflag_f32_e32 v1, s2
	s_bfe_u32 s2, ttmp6, 0x40014
	s_add_co_i32 s2, s2, 1
	s_delay_alu instid0(SALU_CYCLE_1) | instskip(NEXT) | instid1(SALU_CYCLE_1)
	s_mul_i32 s2, s12, s2
	s_add_co_i32 s13, s13, s2
	v_nop
	s_delay_alu instid0(TRANS32_DEP_1) | instskip(SKIP_4) | instid1(SALU_CYCLE_1)
	v_readfirstlane_b32 s3, v1
	v_bfe_u32 v1, v0, 10, 10
	v_and_b32_e32 v0, 0x3ff, v0
	s_mul_f32 s14, s3, 0x4f7ffffe
	s_getreg_b32 s3, hwreg(HW_REG_IB_STS2, 6, 4)
	s_cmp_eq_u32 s3, 0
	s_delay_alu instid0(SALU_CYCLE_1) | instskip(SKIP_2) | instid1(SALU_CYCLE_1)
	s_cvt_u32_f32 s2, s14
	s_cselect_b32 s14, s12, s13
	s_sub_co_i32 s12, 0, s11
	s_mul_i32 s12, s12, s2
	s_delay_alu instid0(SALU_CYCLE_1) | instskip(NEXT) | instid1(SALU_CYCLE_1)
	s_mul_hi_u32 s12, s2, s12
	s_add_co_i32 s2, s2, s12
	s_delay_alu instid0(SALU_CYCLE_1) | instskip(NEXT) | instid1(SALU_CYCLE_1)
	s_mul_hi_u32 s2, s14, s2
	s_mul_i32 s12, s2, s11
	s_add_co_i32 s13, s2, 1
	s_sub_co_i32 s12, s14, s12
	s_delay_alu instid0(SALU_CYCLE_1)
	s_sub_co_i32 s15, s12, s11
	s_cmp_ge_u32 s12, s11
	s_cselect_b32 s2, s13, s2
	s_cselect_b32 s12, s15, s12
	s_add_co_i32 s13, s2, 1
	s_cmp_ge_u32 s12, s11
	s_cselect_b32 s2, s13, s2
	s_delay_alu instid0(SALU_CYCLE_1) | instskip(SKIP_4) | instid1(VALU_DEP_2)
	s_mul_i32 s15, s2, s11
	s_lshl_b32 s16, s2, 4
	s_sub_co_i32 s2, s14, s15
	v_add_nc_u32_e32 v4, s16, v1
	v_lshl_add_u32 v5, s2, 4, v0
	v_cmp_gt_i32_e32 vcc_lo, s9, v4
	s_delay_alu instid0(VALU_DEP_2) | instskip(SKIP_1) | instid1(SALU_CYCLE_1)
	v_cmp_gt_i32_e64 s2, s10, v5
	s_and_b32 s2, vcc_lo, s2
	s_and_saveexec_b32 s11, s2
	s_cbranch_execz .LBB0_11
; %bb.1:
	s_load_b64 s[12:13], s[0:1], 0x10
	s_bfe_u32 s2, ttmp6, 0x40010
	s_bfe_u32 s11, ttmp6, 0x4000c
	s_and_b32 s17, ttmp7, 0xffff
	s_add_co_i32 s2, s2, 1
	s_add_co_i32 s11, s11, 1
	s_mul_i32 s2, s17, s2
	s_bfe_u32 s18, ttmp6, 0x40004
	s_and_b32 s19, ttmp6, 15
	s_mul_i32 s11, ttmp9, s11
	s_add_co_i32 s18, s18, s2
	s_add_co_i32 s19, s19, s11
	s_cmp_eq_u32 s3, 0
	s_cselect_b32 s11, ttmp9, s19
	s_cselect_b32 s18, s17, s18
	s_cmp_lt_i32 s4, 1
	s_cbranch_scc1 .LBB0_9
; %bb.2:
	s_mul_i32 s2, s11, s7
	s_cmp_gt_i32 s6, 0
	s_mul_i32 s2, s2, s4
	s_cselect_b32 s19, -1, 0
	v_add3_u32 v1, s16, s2, v1
	s_wait_xcnt 0x0
	s_load_b128 s[0:3], s[0:1], 0x0
	s_lshl_b32 s14, s14, 4
	s_mul_i32 s20, s6, s6
	v_mov_b32_e32 v6, 0
	v_mul_lo_u32 v1, s8, v1
	s_mov_b32 s21, 0
	s_mul_i32 s7, s8, s7
	s_delay_alu instid0(VALU_DEP_1) | instskip(SKIP_2) | instid1(SALU_CYCLE_1)
	v_add3_u32 v0, v0, v1, s14
	s_lshl_b32 s14, s15, 4
	s_mul_i32 s15, s18, s20
	s_mul_i32 s22, s15, s4
	s_delay_alu instid0(VALU_DEP_1)
	v_subrev_nc_u32_e32 v7, s14, v0
	s_branch .LBB0_4
.LBB0_3:                                ;   in Loop: Header=BB0_4 Depth=1
	s_delay_alu instid0(VALU_DEP_1)
	v_add_nc_u32_e32 v7, s7, v7
	s_add_co_i32 s21, s21, 1
	s_add_co_i32 s22, s22, s20
	s_cmp_eq_u32 s21, s4
	s_cbranch_scc1 .LBB0_10
.LBB0_4:                                ; =>This Loop Header: Depth=1
                                        ;     Child Loop BB0_6 Depth 2
                                        ;       Child Loop BB0_7 Depth 3
	s_and_not1_b32 vcc_lo, exec_lo, s19
	s_cbranch_vccnz .LBB0_3
; %bb.5:                                ;   in Loop: Header=BB0_4 Depth=1
	s_delay_alu instid0(VALU_DEP_1)
	v_mov_b32_e32 v0, v7
	s_mov_b32 s23, 0
	s_mov_b32 s14, s22
.LBB0_6:                                ;   Parent Loop BB0_4 Depth=1
                                        ; =>  This Loop Header: Depth=2
                                        ;       Child Loop BB0_7 Depth 3
	s_delay_alu instid0(VALU_DEP_1) | instskip(SKIP_1) | instid1(SALU_CYCLE_1)
	v_ashrrev_i32_e32 v1, 31, v0
	s_ashr_i32 s15, s14, 31
	s_lshl_b64 s[16:17], s[14:15], 2
	s_mov_b32 s15, s6
	s_wait_kmcnt 0x0
	v_lshl_add_u64 v[2:3], v[0:1], 2, s[0:1]
	s_add_nc_u64 s[16:17], s[2:3], s[16:17]
.LBB0_7:                                ;   Parent Loop BB0_4 Depth=1
                                        ;     Parent Loop BB0_6 Depth=2
                                        ; =>    This Inner Loop Header: Depth=3
	global_load_b32 v1, v[2:3], off
	s_load_b32 s24, s[16:17], 0x0
	v_add_nc_u64_e32 v[2:3], 4, v[2:3]
	s_add_co_i32 s15, s15, -1
	s_wait_xcnt 0x0
	s_add_nc_u64 s[16:17], s[16:17], 4
	s_cmp_eq_u32 s15, 0
	s_wait_loadcnt 0x0
	s_wait_kmcnt 0x0
	v_fmac_f32_e32 v6, s24, v1
	s_cbranch_scc0 .LBB0_7
; %bb.8:                                ;   in Loop: Header=BB0_6 Depth=2
	v_add_nc_u32_e32 v0, s8, v0
	s_add_co_i32 s23, s23, 1
	s_add_co_i32 s14, s14, s6
	s_cmp_eq_u32 s23, s6
	s_cbranch_scc0 .LBB0_6
	s_branch .LBB0_3
.LBB0_9:
	v_mov_b32_e32 v6, 0
.LBB0_10:
	s_wait_kmcnt 0x0
	s_mul_i32 s0, s5, s11
	s_delay_alu instid0(SALU_CYCLE_1) | instskip(NEXT) | instid1(SALU_CYCLE_1)
	s_add_co_i32 s0, s0, s18
	v_mad_u32 v0, s9, s0, v4
	s_delay_alu instid0(VALU_DEP_1)
	v_mad_u32 v0, v0, s10, v5
	global_store_b32 v0, v6, s[12:13] scale_offset
.LBB0_11:
	s_endpgm
	.section	.rodata,"a",@progbits
	.p2align	6, 0x0
	.amdhsa_kernel _Z9conv3d_s1IfEvPKT_S2_PS0_iiiiiiii
		.amdhsa_group_segment_fixed_size 0
		.amdhsa_private_segment_fixed_size 0
		.amdhsa_kernarg_size 56
		.amdhsa_user_sgpr_count 2
		.amdhsa_user_sgpr_dispatch_ptr 0
		.amdhsa_user_sgpr_queue_ptr 0
		.amdhsa_user_sgpr_kernarg_segment_ptr 1
		.amdhsa_user_sgpr_dispatch_id 0
		.amdhsa_user_sgpr_kernarg_preload_length 0
		.amdhsa_user_sgpr_kernarg_preload_offset 0
		.amdhsa_user_sgpr_private_segment_size 0
		.amdhsa_wavefront_size32 1
		.amdhsa_uses_dynamic_stack 0
		.amdhsa_enable_private_segment 0
		.amdhsa_system_sgpr_workgroup_id_x 1
		.amdhsa_system_sgpr_workgroup_id_y 1
		.amdhsa_system_sgpr_workgroup_id_z 1
		.amdhsa_system_sgpr_workgroup_info 0
		.amdhsa_system_vgpr_workitem_id 1
		.amdhsa_next_free_vgpr 8
		.amdhsa_next_free_sgpr 25
		.amdhsa_named_barrier_count 0
		.amdhsa_reserve_vcc 1
		.amdhsa_float_round_mode_32 0
		.amdhsa_float_round_mode_16_64 0
		.amdhsa_float_denorm_mode_32 3
		.amdhsa_float_denorm_mode_16_64 3
		.amdhsa_fp16_overflow 0
		.amdhsa_memory_ordered 1
		.amdhsa_forward_progress 1
		.amdhsa_inst_pref_size 6
		.amdhsa_round_robin_scheduling 0
		.amdhsa_exception_fp_ieee_invalid_op 0
		.amdhsa_exception_fp_denorm_src 0
		.amdhsa_exception_fp_ieee_div_zero 0
		.amdhsa_exception_fp_ieee_overflow 0
		.amdhsa_exception_fp_ieee_underflow 0
		.amdhsa_exception_fp_ieee_inexact 0
		.amdhsa_exception_int_div_zero 0
	.end_amdhsa_kernel
	.section	.text._Z9conv3d_s1IfEvPKT_S2_PS0_iiiiiiii,"axG",@progbits,_Z9conv3d_s1IfEvPKT_S2_PS0_iiiiiiii,comdat
.Lfunc_end0:
	.size	_Z9conv3d_s1IfEvPKT_S2_PS0_iiiiiiii, .Lfunc_end0-_Z9conv3d_s1IfEvPKT_S2_PS0_iiiiiiii
                                        ; -- End function
	.set _Z9conv3d_s1IfEvPKT_S2_PS0_iiiiiiii.num_vgpr, 8
	.set _Z9conv3d_s1IfEvPKT_S2_PS0_iiiiiiii.num_agpr, 0
	.set _Z9conv3d_s1IfEvPKT_S2_PS0_iiiiiiii.numbered_sgpr, 25
	.set _Z9conv3d_s1IfEvPKT_S2_PS0_iiiiiiii.num_named_barrier, 0
	.set _Z9conv3d_s1IfEvPKT_S2_PS0_iiiiiiii.private_seg_size, 0
	.set _Z9conv3d_s1IfEvPKT_S2_PS0_iiiiiiii.uses_vcc, 1
	.set _Z9conv3d_s1IfEvPKT_S2_PS0_iiiiiiii.uses_flat_scratch, 0
	.set _Z9conv3d_s1IfEvPKT_S2_PS0_iiiiiiii.has_dyn_sized_stack, 0
	.set _Z9conv3d_s1IfEvPKT_S2_PS0_iiiiiiii.has_recursion, 0
	.set _Z9conv3d_s1IfEvPKT_S2_PS0_iiiiiiii.has_indirect_call, 0
	.section	.AMDGPU.csdata,"",@progbits
; Kernel info:
; codeLenInByte = 652
; TotalNumSgprs: 27
; NumVgprs: 8
; ScratchSize: 0
; MemoryBound: 0
; FloatMode: 240
; IeeeMode: 1
; LDSByteSize: 0 bytes/workgroup (compile time only)
; SGPRBlocks: 0
; VGPRBlocks: 0
; NumSGPRsForWavesPerEU: 27
; NumVGPRsForWavesPerEU: 8
; NamedBarCnt: 0
; Occupancy: 16
; WaveLimiterHint : 0
; COMPUTE_PGM_RSRC2:SCRATCH_EN: 0
; COMPUTE_PGM_RSRC2:USER_SGPR: 2
; COMPUTE_PGM_RSRC2:TRAP_HANDLER: 0
; COMPUTE_PGM_RSRC2:TGID_X_EN: 1
; COMPUTE_PGM_RSRC2:TGID_Y_EN: 1
; COMPUTE_PGM_RSRC2:TGID_Z_EN: 1
; COMPUTE_PGM_RSRC2:TIDIG_COMP_CNT: 1
	.section	.text._Z9conv3d_s2IfEvPKT_S2_PS0_iiiiiiii,"axG",@progbits,_Z9conv3d_s2IfEvPKT_S2_PS0_iiiiiiii,comdat
	.protected	_Z9conv3d_s2IfEvPKT_S2_PS0_iiiiiiii ; -- Begin function _Z9conv3d_s2IfEvPKT_S2_PS0_iiiiiiii
	.globl	_Z9conv3d_s2IfEvPKT_S2_PS0_iiiiiiii
	.p2align	8
	.type	_Z9conv3d_s2IfEvPKT_S2_PS0_iiiiiiii,@function
_Z9conv3d_s2IfEvPKT_S2_PS0_iiiiiiii:    ; @_Z9conv3d_s2IfEvPKT_S2_PS0_iiiiiiii
; %bb.0:
	s_load_b256 s[4:11], s[0:1], 0x18
	s_and_b32 s12, ttmp7, 0xffff
	s_bfe_u32 s13, ttmp6, 0x40004
	s_wait_kmcnt 0x0
	s_cvt_f32_u32 s2, s11
	s_delay_alu instid0(SALU_CYCLE_3) | instskip(SKIP_1) | instid1(SALU_CYCLE_1)
	v_rcp_iflag_f32_e32 v1, s2
	s_bfe_u32 s2, ttmp6, 0x40010
	s_add_co_i32 s2, s2, 1
	s_delay_alu instid0(SALU_CYCLE_1) | instskip(NEXT) | instid1(SALU_CYCLE_1)
	s_mul_i32 s2, s12, s2
	s_add_co_i32 s13, s13, s2
	v_nop
	s_delay_alu instid0(TRANS32_DEP_1) | instskip(SKIP_4) | instid1(SALU_CYCLE_1)
	v_readfirstlane_b32 s3, v1
	v_bfe_u32 v1, v0, 10, 10
	v_and_b32_e32 v0, 0x3ff, v0
	s_mul_f32 s14, s3, 0x4f7ffffe
	s_getreg_b32 s3, hwreg(HW_REG_IB_STS2, 6, 4)
	s_cmp_eq_u32 s3, 0
	s_delay_alu instid0(SALU_CYCLE_1) | instskip(SKIP_2) | instid1(SALU_CYCLE_1)
	s_cvt_u32_f32 s2, s14
	s_cselect_b32 s14, s12, s13
	s_sub_co_i32 s12, 0, s11
	s_mul_i32 s12, s12, s2
	s_delay_alu instid0(SALU_CYCLE_1) | instskip(NEXT) | instid1(SALU_CYCLE_1)
	s_mul_hi_u32 s12, s2, s12
	s_add_co_i32 s2, s2, s12
	s_delay_alu instid0(SALU_CYCLE_1) | instskip(NEXT) | instid1(SALU_CYCLE_1)
	s_mul_hi_u32 s2, s14, s2
	s_mul_i32 s12, s2, s11
	s_add_co_i32 s13, s2, 1
	s_sub_co_i32 s12, s14, s12
	s_delay_alu instid0(SALU_CYCLE_1)
	s_sub_co_i32 s15, s12, s11
	s_cmp_ge_u32 s12, s11
	s_cselect_b32 s2, s13, s2
	s_cselect_b32 s12, s15, s12
	s_add_co_i32 s13, s2, 1
	s_cmp_ge_u32 s12, s11
	s_cselect_b32 s2, s13, s2
	s_delay_alu instid0(SALU_CYCLE_1) | instskip(SKIP_4) | instid1(VALU_DEP_2)
	s_mul_i32 s15, s2, s11
	s_lshl_b32 s16, s2, 4
	s_sub_co_i32 s2, s14, s15
	v_add_nc_u32_e32 v4, s16, v1
	v_lshl_add_u32 v5, s2, 4, v0
	v_cmp_gt_i32_e32 vcc_lo, s9, v4
	s_delay_alu instid0(VALU_DEP_2) | instskip(SKIP_1) | instid1(SALU_CYCLE_1)
	v_cmp_gt_i32_e64 s2, s10, v5
	s_and_b32 s2, vcc_lo, s2
	s_and_saveexec_b32 s11, s2
	s_cbranch_execz .LBB1_11
; %bb.1:
	s_load_b64 s[12:13], s[0:1], 0x10
	s_bfe_u32 s2, ttmp6, 0x40014
	s_bfe_u32 s11, ttmp6, 0x4000c
	s_lshr_b32 s17, ttmp7, 16
	s_add_co_i32 s2, s2, 1
	s_add_co_i32 s11, s11, 1
	s_mul_i32 s2, s17, s2
	s_bfe_u32 s18, ttmp6, 0x40008
	s_and_b32 s19, ttmp6, 15
	s_mul_i32 s11, ttmp9, s11
	s_add_co_i32 s18, s18, s2
	s_add_co_i32 s19, s19, s11
	s_cmp_eq_u32 s3, 0
	s_cselect_b32 s11, ttmp9, s19
	s_cselect_b32 s18, s17, s18
	s_cmp_lt_i32 s4, 1
	s_cbranch_scc1 .LBB1_9
; %bb.2:
	s_mul_i32 s2, s18, s7
	s_cmp_gt_i32 s6, 0
	s_mul_i32 s2, s2, s4
	s_cselect_b32 s19, -1, 0
	v_add3_u32 v1, s16, s2, v1
	s_wait_xcnt 0x0
	s_load_b128 s[0:3], s[0:1], 0x0
	s_lshl_b32 s14, s14, 4
	s_mul_i32 s20, s6, s6
	v_mov_b32_e32 v6, 0
	v_mul_lo_u32 v1, s8, v1
	s_mov_b32 s21, 0
	s_mul_i32 s7, s8, s7
	s_delay_alu instid0(VALU_DEP_1) | instskip(SKIP_2) | instid1(SALU_CYCLE_1)
	v_add3_u32 v0, v0, v1, s14
	s_lshl_b32 s14, s15, 4
	s_mul_i32 s15, s11, s20
	s_mul_i32 s22, s15, s4
	s_delay_alu instid0(VALU_DEP_1)
	v_subrev_nc_u32_e32 v7, s14, v0
	s_branch .LBB1_4
.LBB1_3:                                ;   in Loop: Header=BB1_4 Depth=1
	s_delay_alu instid0(VALU_DEP_1)
	v_add_nc_u32_e32 v7, s7, v7
	s_add_co_i32 s21, s21, 1
	s_add_co_i32 s22, s22, s20
	s_cmp_eq_u32 s21, s4
	s_cbranch_scc1 .LBB1_10
.LBB1_4:                                ; =>This Loop Header: Depth=1
                                        ;     Child Loop BB1_6 Depth 2
                                        ;       Child Loop BB1_7 Depth 3
	s_and_not1_b32 vcc_lo, exec_lo, s19
	s_cbranch_vccnz .LBB1_3
; %bb.5:                                ;   in Loop: Header=BB1_4 Depth=1
	s_delay_alu instid0(VALU_DEP_1)
	v_mov_b32_e32 v0, v7
	s_mov_b32 s23, 0
	s_mov_b32 s14, s22
.LBB1_6:                                ;   Parent Loop BB1_4 Depth=1
                                        ; =>  This Loop Header: Depth=2
                                        ;       Child Loop BB1_7 Depth 3
	s_delay_alu instid0(VALU_DEP_1) | instskip(SKIP_1) | instid1(SALU_CYCLE_1)
	v_ashrrev_i32_e32 v1, 31, v0
	s_ashr_i32 s15, s14, 31
	s_lshl_b64 s[16:17], s[14:15], 2
	s_mov_b32 s15, s6
	s_wait_kmcnt 0x0
	v_lshl_add_u64 v[2:3], v[0:1], 2, s[0:1]
	s_add_nc_u64 s[16:17], s[2:3], s[16:17]
.LBB1_7:                                ;   Parent Loop BB1_4 Depth=1
                                        ;     Parent Loop BB1_6 Depth=2
                                        ; =>    This Inner Loop Header: Depth=3
	global_load_b32 v1, v[2:3], off
	s_load_b32 s24, s[16:17], 0x0
	v_add_nc_u64_e32 v[2:3], 4, v[2:3]
	s_add_co_i32 s15, s15, -1
	s_wait_xcnt 0x0
	s_add_nc_u64 s[16:17], s[16:17], 4
	s_cmp_eq_u32 s15, 0
	s_wait_loadcnt 0x0
	s_wait_kmcnt 0x0
	v_fmac_f32_e32 v6, s24, v1
	s_cbranch_scc0 .LBB1_7
; %bb.8:                                ;   in Loop: Header=BB1_6 Depth=2
	v_add_nc_u32_e32 v0, s8, v0
	s_add_co_i32 s23, s23, 1
	s_add_co_i32 s14, s14, s6
	s_cmp_eq_u32 s23, s6
	s_cbranch_scc0 .LBB1_6
	s_branch .LBB1_3
.LBB1_9:
	v_mov_b32_e32 v6, 0
.LBB1_10:
	s_wait_kmcnt 0x0
	s_mul_i32 s0, s5, s18
	s_delay_alu instid0(SALU_CYCLE_1) | instskip(NEXT) | instid1(SALU_CYCLE_1)
	s_add_co_i32 s0, s0, s11
	v_mad_u32 v0, s9, s0, v4
	s_delay_alu instid0(VALU_DEP_1)
	v_mad_u32 v0, v0, s10, v5
	global_store_b32 v0, v6, s[12:13] scale_offset
.LBB1_11:
	s_endpgm
	.section	.rodata,"a",@progbits
	.p2align	6, 0x0
	.amdhsa_kernel _Z9conv3d_s2IfEvPKT_S2_PS0_iiiiiiii
		.amdhsa_group_segment_fixed_size 0
		.amdhsa_private_segment_fixed_size 0
		.amdhsa_kernarg_size 56
		.amdhsa_user_sgpr_count 2
		.amdhsa_user_sgpr_dispatch_ptr 0
		.amdhsa_user_sgpr_queue_ptr 0
		.amdhsa_user_sgpr_kernarg_segment_ptr 1
		.amdhsa_user_sgpr_dispatch_id 0
		.amdhsa_user_sgpr_kernarg_preload_length 0
		.amdhsa_user_sgpr_kernarg_preload_offset 0
		.amdhsa_user_sgpr_private_segment_size 0
		.amdhsa_wavefront_size32 1
		.amdhsa_uses_dynamic_stack 0
		.amdhsa_enable_private_segment 0
		.amdhsa_system_sgpr_workgroup_id_x 1
		.amdhsa_system_sgpr_workgroup_id_y 1
		.amdhsa_system_sgpr_workgroup_id_z 1
		.amdhsa_system_sgpr_workgroup_info 0
		.amdhsa_system_vgpr_workitem_id 1
		.amdhsa_next_free_vgpr 8
		.amdhsa_next_free_sgpr 25
		.amdhsa_named_barrier_count 0
		.amdhsa_reserve_vcc 1
		.amdhsa_float_round_mode_32 0
		.amdhsa_float_round_mode_16_64 0
		.amdhsa_float_denorm_mode_32 3
		.amdhsa_float_denorm_mode_16_64 3
		.amdhsa_fp16_overflow 0
		.amdhsa_memory_ordered 1
		.amdhsa_forward_progress 1
		.amdhsa_inst_pref_size 6
		.amdhsa_round_robin_scheduling 0
		.amdhsa_exception_fp_ieee_invalid_op 0
		.amdhsa_exception_fp_denorm_src 0
		.amdhsa_exception_fp_ieee_div_zero 0
		.amdhsa_exception_fp_ieee_overflow 0
		.amdhsa_exception_fp_ieee_underflow 0
		.amdhsa_exception_fp_ieee_inexact 0
		.amdhsa_exception_int_div_zero 0
	.end_amdhsa_kernel
	.section	.text._Z9conv3d_s2IfEvPKT_S2_PS0_iiiiiiii,"axG",@progbits,_Z9conv3d_s2IfEvPKT_S2_PS0_iiiiiiii,comdat
.Lfunc_end1:
	.size	_Z9conv3d_s2IfEvPKT_S2_PS0_iiiiiiii, .Lfunc_end1-_Z9conv3d_s2IfEvPKT_S2_PS0_iiiiiiii
                                        ; -- End function
	.set _Z9conv3d_s2IfEvPKT_S2_PS0_iiiiiiii.num_vgpr, 8
	.set _Z9conv3d_s2IfEvPKT_S2_PS0_iiiiiiii.num_agpr, 0
	.set _Z9conv3d_s2IfEvPKT_S2_PS0_iiiiiiii.numbered_sgpr, 25
	.set _Z9conv3d_s2IfEvPKT_S2_PS0_iiiiiiii.num_named_barrier, 0
	.set _Z9conv3d_s2IfEvPKT_S2_PS0_iiiiiiii.private_seg_size, 0
	.set _Z9conv3d_s2IfEvPKT_S2_PS0_iiiiiiii.uses_vcc, 1
	.set _Z9conv3d_s2IfEvPKT_S2_PS0_iiiiiiii.uses_flat_scratch, 0
	.set _Z9conv3d_s2IfEvPKT_S2_PS0_iiiiiiii.has_dyn_sized_stack, 0
	.set _Z9conv3d_s2IfEvPKT_S2_PS0_iiiiiiii.has_recursion, 0
	.set _Z9conv3d_s2IfEvPKT_S2_PS0_iiiiiiii.has_indirect_call, 0
	.section	.AMDGPU.csdata,"",@progbits
; Kernel info:
; codeLenInByte = 652
; TotalNumSgprs: 27
; NumVgprs: 8
; ScratchSize: 0
; MemoryBound: 0
; FloatMode: 240
; IeeeMode: 1
; LDSByteSize: 0 bytes/workgroup (compile time only)
; SGPRBlocks: 0
; VGPRBlocks: 0
; NumSGPRsForWavesPerEU: 27
; NumVGPRsForWavesPerEU: 8
; NamedBarCnt: 0
; Occupancy: 16
; WaveLimiterHint : 0
; COMPUTE_PGM_RSRC2:SCRATCH_EN: 0
; COMPUTE_PGM_RSRC2:USER_SGPR: 2
; COMPUTE_PGM_RSRC2:TRAP_HANDLER: 0
; COMPUTE_PGM_RSRC2:TGID_X_EN: 1
; COMPUTE_PGM_RSRC2:TGID_Y_EN: 1
; COMPUTE_PGM_RSRC2:TGID_Z_EN: 1
; COMPUTE_PGM_RSRC2:TIDIG_COMP_CNT: 1
	.section	.text._Z9conv3d_s3IfEvPKT_S2_PS0_iiiiiiii,"axG",@progbits,_Z9conv3d_s3IfEvPKT_S2_PS0_iiiiiiii,comdat
	.protected	_Z9conv3d_s3IfEvPKT_S2_PS0_iiiiiiii ; -- Begin function _Z9conv3d_s3IfEvPKT_S2_PS0_iiiiiiii
	.globl	_Z9conv3d_s3IfEvPKT_S2_PS0_iiiiiiii
	.p2align	8
	.type	_Z9conv3d_s3IfEvPKT_S2_PS0_iiiiiiii,@function
_Z9conv3d_s3IfEvPKT_S2_PS0_iiiiiiii:    ; @_Z9conv3d_s3IfEvPKT_S2_PS0_iiiiiiii
; %bb.0:
	s_load_b256 s[4:11], s[0:1], 0x18
	s_and_b32 s12, ttmp6, 15
	s_wait_kmcnt 0x0
	s_cvt_f32_u32 s2, s11
	s_delay_alu instid0(SALU_CYCLE_3) | instskip(SKIP_1) | instid1(SALU_CYCLE_1)
	v_rcp_iflag_f32_e32 v1, s2
	s_bfe_u32 s2, ttmp6, 0x4000c
	s_add_co_i32 s2, s2, 1
	s_delay_alu instid0(SALU_CYCLE_1) | instskip(NEXT) | instid1(SALU_CYCLE_1)
	s_mul_i32 s2, ttmp9, s2
	s_add_co_i32 s12, s12, s2
	v_nop
	s_delay_alu instid0(TRANS32_DEP_1) | instskip(SKIP_4) | instid1(SALU_CYCLE_1)
	v_readfirstlane_b32 s3, v1
	v_bfe_u32 v1, v0, 10, 10
	v_and_b32_e32 v0, 0x3ff, v0
	s_mul_f32 s13, s3, 0x4f7ffffe
	s_getreg_b32 s3, hwreg(HW_REG_IB_STS2, 6, 4)
	s_cmp_eq_u32 s3, 0
	s_delay_alu instid0(SALU_CYCLE_1) | instskip(SKIP_2) | instid1(SALU_CYCLE_1)
	s_cvt_u32_f32 s2, s13
	s_cselect_b32 s14, ttmp9, s12
	s_sub_co_i32 s12, 0, s11
	s_mul_i32 s12, s12, s2
	s_delay_alu instid0(SALU_CYCLE_1) | instskip(NEXT) | instid1(SALU_CYCLE_1)
	s_mul_hi_u32 s12, s2, s12
	s_add_co_i32 s2, s2, s12
	s_delay_alu instid0(SALU_CYCLE_1) | instskip(NEXT) | instid1(SALU_CYCLE_1)
	s_mul_hi_u32 s2, s14, s2
	s_mul_i32 s12, s2, s11
	s_add_co_i32 s13, s2, 1
	s_sub_co_i32 s12, s14, s12
	s_delay_alu instid0(SALU_CYCLE_1)
	s_sub_co_i32 s15, s12, s11
	s_cmp_ge_u32 s12, s11
	s_cselect_b32 s2, s13, s2
	s_cselect_b32 s12, s15, s12
	s_add_co_i32 s13, s2, 1
	s_cmp_ge_u32 s12, s11
	s_cselect_b32 s2, s13, s2
	s_delay_alu instid0(SALU_CYCLE_1) | instskip(SKIP_4) | instid1(VALU_DEP_2)
	s_mul_i32 s15, s2, s11
	s_lshl_b32 s16, s2, 4
	s_sub_co_i32 s2, s14, s15
	v_add_nc_u32_e32 v4, s16, v1
	v_lshl_add_u32 v5, s2, 4, v0
	v_cmp_gt_i32_e32 vcc_lo, s9, v4
	s_delay_alu instid0(VALU_DEP_2) | instskip(SKIP_1) | instid1(SALU_CYCLE_1)
	v_cmp_gt_i32_e64 s2, s10, v5
	s_and_b32 s2, vcc_lo, s2
	s_and_saveexec_b32 s11, s2
	s_cbranch_execz .LBB2_11
; %bb.1:
	s_load_b64 s[12:13], s[0:1], 0x10
	s_bfe_u32 s2, ttmp6, 0x40014
	s_bfe_u32 s11, ttmp6, 0x40010
	s_lshr_b32 s17, ttmp7, 16
	s_add_co_i32 s2, s2, 1
	s_and_b32 s18, ttmp7, 0xffff
	s_add_co_i32 s11, s11, 1
	s_mul_i32 s2, s17, s2
	s_bfe_u32 s19, ttmp6, 0x40008
	s_mul_i32 s11, s18, s11
	s_bfe_u32 s20, ttmp6, 0x40004
	s_add_co_i32 s19, s19, s2
	s_add_co_i32 s20, s20, s11
	s_cmp_eq_u32 s3, 0
	s_cselect_b32 s11, s18, s20
	s_cselect_b32 s18, s17, s19
	s_cmp_lt_i32 s4, 1
	s_cbranch_scc1 .LBB2_9
; %bb.2:
	s_mul_i32 s2, s11, s7
	s_cmp_gt_i32 s6, 0
	s_mul_i32 s2, s2, s4
	s_cselect_b32 s19, -1, 0
	v_add3_u32 v1, s16, s2, v1
	s_wait_xcnt 0x0
	s_load_b128 s[0:3], s[0:1], 0x0
	s_lshl_b32 s14, s14, 4
	s_mul_i32 s20, s6, s6
	v_mov_b32_e32 v6, 0
	v_mul_lo_u32 v1, s8, v1
	s_mov_b32 s21, 0
	s_mul_i32 s7, s8, s7
	s_delay_alu instid0(VALU_DEP_1) | instskip(SKIP_2) | instid1(SALU_CYCLE_1)
	v_add3_u32 v0, v0, v1, s14
	s_lshl_b32 s14, s15, 4
	s_mul_i32 s15, s18, s20
	s_mul_i32 s22, s15, s4
	s_delay_alu instid0(VALU_DEP_1)
	v_subrev_nc_u32_e32 v7, s14, v0
	s_branch .LBB2_4
.LBB2_3:                                ;   in Loop: Header=BB2_4 Depth=1
	s_delay_alu instid0(VALU_DEP_1)
	v_add_nc_u32_e32 v7, s7, v7
	s_add_co_i32 s21, s21, 1
	s_add_co_i32 s22, s22, s20
	s_cmp_eq_u32 s21, s4
	s_cbranch_scc1 .LBB2_10
.LBB2_4:                                ; =>This Loop Header: Depth=1
                                        ;     Child Loop BB2_6 Depth 2
                                        ;       Child Loop BB2_7 Depth 3
	s_and_not1_b32 vcc_lo, exec_lo, s19
	s_cbranch_vccnz .LBB2_3
; %bb.5:                                ;   in Loop: Header=BB2_4 Depth=1
	s_delay_alu instid0(VALU_DEP_1)
	v_mov_b32_e32 v0, v7
	s_mov_b32 s23, 0
	s_mov_b32 s14, s22
.LBB2_6:                                ;   Parent Loop BB2_4 Depth=1
                                        ; =>  This Loop Header: Depth=2
                                        ;       Child Loop BB2_7 Depth 3
	s_delay_alu instid0(VALU_DEP_1) | instskip(SKIP_1) | instid1(SALU_CYCLE_1)
	v_ashrrev_i32_e32 v1, 31, v0
	s_ashr_i32 s15, s14, 31
	s_lshl_b64 s[16:17], s[14:15], 2
	s_mov_b32 s15, s6
	s_wait_kmcnt 0x0
	v_lshl_add_u64 v[2:3], v[0:1], 2, s[0:1]
	s_add_nc_u64 s[16:17], s[2:3], s[16:17]
.LBB2_7:                                ;   Parent Loop BB2_4 Depth=1
                                        ;     Parent Loop BB2_6 Depth=2
                                        ; =>    This Inner Loop Header: Depth=3
	global_load_b32 v1, v[2:3], off
	s_load_b32 s24, s[16:17], 0x0
	v_add_nc_u64_e32 v[2:3], 4, v[2:3]
	s_add_co_i32 s15, s15, -1
	s_wait_xcnt 0x0
	s_add_nc_u64 s[16:17], s[16:17], 4
	s_cmp_eq_u32 s15, 0
	s_wait_loadcnt 0x0
	s_wait_kmcnt 0x0
	v_fmac_f32_e32 v6, s24, v1
	s_cbranch_scc0 .LBB2_7
; %bb.8:                                ;   in Loop: Header=BB2_6 Depth=2
	v_add_nc_u32_e32 v0, s8, v0
	s_add_co_i32 s23, s23, 1
	s_add_co_i32 s14, s14, s6
	s_cmp_eq_u32 s23, s6
	s_cbranch_scc0 .LBB2_6
	s_branch .LBB2_3
.LBB2_9:
	v_mov_b32_e32 v6, 0
.LBB2_10:
	s_wait_kmcnt 0x0
	s_mul_i32 s0, s5, s11
	s_delay_alu instid0(SALU_CYCLE_1) | instskip(NEXT) | instid1(SALU_CYCLE_1)
	s_add_co_i32 s0, s0, s18
	v_mad_u32 v0, s9, s0, v4
	s_delay_alu instid0(VALU_DEP_1)
	v_mad_u32 v0, v0, s10, v5
	global_store_b32 v0, v6, s[12:13] scale_offset
.LBB2_11:
	s_endpgm
	.section	.rodata,"a",@progbits
	.p2align	6, 0x0
	.amdhsa_kernel _Z9conv3d_s3IfEvPKT_S2_PS0_iiiiiiii
		.amdhsa_group_segment_fixed_size 0
		.amdhsa_private_segment_fixed_size 0
		.amdhsa_kernarg_size 56
		.amdhsa_user_sgpr_count 2
		.amdhsa_user_sgpr_dispatch_ptr 0
		.amdhsa_user_sgpr_queue_ptr 0
		.amdhsa_user_sgpr_kernarg_segment_ptr 1
		.amdhsa_user_sgpr_dispatch_id 0
		.amdhsa_user_sgpr_kernarg_preload_length 0
		.amdhsa_user_sgpr_kernarg_preload_offset 0
		.amdhsa_user_sgpr_private_segment_size 0
		.amdhsa_wavefront_size32 1
		.amdhsa_uses_dynamic_stack 0
		.amdhsa_enable_private_segment 0
		.amdhsa_system_sgpr_workgroup_id_x 1
		.amdhsa_system_sgpr_workgroup_id_y 1
		.amdhsa_system_sgpr_workgroup_id_z 1
		.amdhsa_system_sgpr_workgroup_info 0
		.amdhsa_system_vgpr_workitem_id 1
		.amdhsa_next_free_vgpr 8
		.amdhsa_next_free_sgpr 25
		.amdhsa_named_barrier_count 0
		.amdhsa_reserve_vcc 1
		.amdhsa_float_round_mode_32 0
		.amdhsa_float_round_mode_16_64 0
		.amdhsa_float_denorm_mode_32 3
		.amdhsa_float_denorm_mode_16_64 3
		.amdhsa_fp16_overflow 0
		.amdhsa_memory_ordered 1
		.amdhsa_forward_progress 1
		.amdhsa_inst_pref_size 6
		.amdhsa_round_robin_scheduling 0
		.amdhsa_exception_fp_ieee_invalid_op 0
		.amdhsa_exception_fp_denorm_src 0
		.amdhsa_exception_fp_ieee_div_zero 0
		.amdhsa_exception_fp_ieee_overflow 0
		.amdhsa_exception_fp_ieee_underflow 0
		.amdhsa_exception_fp_ieee_inexact 0
		.amdhsa_exception_int_div_zero 0
	.end_amdhsa_kernel
	.section	.text._Z9conv3d_s3IfEvPKT_S2_PS0_iiiiiiii,"axG",@progbits,_Z9conv3d_s3IfEvPKT_S2_PS0_iiiiiiii,comdat
.Lfunc_end2:
	.size	_Z9conv3d_s3IfEvPKT_S2_PS0_iiiiiiii, .Lfunc_end2-_Z9conv3d_s3IfEvPKT_S2_PS0_iiiiiiii
                                        ; -- End function
	.set _Z9conv3d_s3IfEvPKT_S2_PS0_iiiiiiii.num_vgpr, 8
	.set _Z9conv3d_s3IfEvPKT_S2_PS0_iiiiiiii.num_agpr, 0
	.set _Z9conv3d_s3IfEvPKT_S2_PS0_iiiiiiii.numbered_sgpr, 25
	.set _Z9conv3d_s3IfEvPKT_S2_PS0_iiiiiiii.num_named_barrier, 0
	.set _Z9conv3d_s3IfEvPKT_S2_PS0_iiiiiiii.private_seg_size, 0
	.set _Z9conv3d_s3IfEvPKT_S2_PS0_iiiiiiii.uses_vcc, 1
	.set _Z9conv3d_s3IfEvPKT_S2_PS0_iiiiiiii.uses_flat_scratch, 0
	.set _Z9conv3d_s3IfEvPKT_S2_PS0_iiiiiiii.has_dyn_sized_stack, 0
	.set _Z9conv3d_s3IfEvPKT_S2_PS0_iiiiiiii.has_recursion, 0
	.set _Z9conv3d_s3IfEvPKT_S2_PS0_iiiiiiii.has_indirect_call, 0
	.section	.AMDGPU.csdata,"",@progbits
; Kernel info:
; codeLenInByte = 652
; TotalNumSgprs: 27
; NumVgprs: 8
; ScratchSize: 0
; MemoryBound: 0
; FloatMode: 240
; IeeeMode: 1
; LDSByteSize: 0 bytes/workgroup (compile time only)
; SGPRBlocks: 0
; VGPRBlocks: 0
; NumSGPRsForWavesPerEU: 27
; NumVGPRsForWavesPerEU: 8
; NamedBarCnt: 0
; Occupancy: 16
; WaveLimiterHint : 0
; COMPUTE_PGM_RSRC2:SCRATCH_EN: 0
; COMPUTE_PGM_RSRC2:USER_SGPR: 2
; COMPUTE_PGM_RSRC2:TRAP_HANDLER: 0
; COMPUTE_PGM_RSRC2:TGID_X_EN: 1
; COMPUTE_PGM_RSRC2:TGID_Y_EN: 1
; COMPUTE_PGM_RSRC2:TGID_Z_EN: 1
; COMPUTE_PGM_RSRC2:TIDIG_COMP_CNT: 1
	.section	.AMDGPU.gpr_maximums,"",@progbits
	.set amdgpu.max_num_vgpr, 0
	.set amdgpu.max_num_agpr, 0
	.set amdgpu.max_num_sgpr, 0
	.section	.AMDGPU.csdata,"",@progbits
	.type	__hip_cuid_4dfa07052fecc5f6,@object ; @__hip_cuid_4dfa07052fecc5f6
	.section	.bss,"aw",@nobits
	.globl	__hip_cuid_4dfa07052fecc5f6
__hip_cuid_4dfa07052fecc5f6:
	.byte	0                               ; 0x0
	.size	__hip_cuid_4dfa07052fecc5f6, 1

	.ident	"AMD clang version 22.0.0git (https://github.com/RadeonOpenCompute/llvm-project roc-7.2.4 26084 f58b06dce1f9c15707c5f808fd002e18c2accf7e)"
	.section	".note.GNU-stack","",@progbits
	.addrsig
	.addrsig_sym __hip_cuid_4dfa07052fecc5f6
	.amdgpu_metadata
---
amdhsa.kernels:
  - .args:
      - .actual_access:  read_only
        .address_space:  global
        .offset:         0
        .size:           8
        .value_kind:     global_buffer
      - .actual_access:  read_only
        .address_space:  global
        .offset:         8
        .size:           8
        .value_kind:     global_buffer
      - .actual_access:  write_only
        .address_space:  global
        .offset:         16
        .size:           8
        .value_kind:     global_buffer
      - .offset:         24
        .size:           4
        .value_kind:     by_value
      - .offset:         28
        .size:           4
        .value_kind:     by_value
      - .offset:         32
        .size:           4
        .value_kind:     by_value
      - .offset:         36
        .size:           4
        .value_kind:     by_value
      - .offset:         40
        .size:           4
        .value_kind:     by_value
      - .offset:         44
        .size:           4
        .value_kind:     by_value
      - .offset:         48
        .size:           4
        .value_kind:     by_value
      - .offset:         52
        .size:           4
        .value_kind:     by_value
    .group_segment_fixed_size: 0
    .kernarg_segment_align: 8
    .kernarg_segment_size: 56
    .language:       OpenCL C
    .language_version:
      - 2
      - 0
    .max_flat_workgroup_size: 1024
    .name:           _Z9conv3d_s1IfEvPKT_S2_PS0_iiiiiiii
    .private_segment_fixed_size: 0
    .sgpr_count:     27
    .sgpr_spill_count: 0
    .symbol:         _Z9conv3d_s1IfEvPKT_S2_PS0_iiiiiiii.kd
    .uniform_work_group_size: 1
    .uses_dynamic_stack: false
    .vgpr_count:     8
    .vgpr_spill_count: 0
    .wavefront_size: 32
  - .args:
      - .actual_access:  read_only
        .address_space:  global
        .offset:         0
        .size:           8
        .value_kind:     global_buffer
      - .actual_access:  read_only
        .address_space:  global
        .offset:         8
        .size:           8
        .value_kind:     global_buffer
      - .actual_access:  write_only
        .address_space:  global
        .offset:         16
        .size:           8
        .value_kind:     global_buffer
      - .offset:         24
        .size:           4
        .value_kind:     by_value
      - .offset:         28
        .size:           4
        .value_kind:     by_value
      - .offset:         32
        .size:           4
        .value_kind:     by_value
      - .offset:         36
        .size:           4
        .value_kind:     by_value
      - .offset:         40
        .size:           4
        .value_kind:     by_value
      - .offset:         44
        .size:           4
        .value_kind:     by_value
      - .offset:         48
        .size:           4
        .value_kind:     by_value
      - .offset:         52
        .size:           4
        .value_kind:     by_value
    .group_segment_fixed_size: 0
    .kernarg_segment_align: 8
    .kernarg_segment_size: 56
    .language:       OpenCL C
    .language_version:
      - 2
      - 0
    .max_flat_workgroup_size: 1024
    .name:           _Z9conv3d_s2IfEvPKT_S2_PS0_iiiiiiii
    .private_segment_fixed_size: 0
    .sgpr_count:     27
    .sgpr_spill_count: 0
    .symbol:         _Z9conv3d_s2IfEvPKT_S2_PS0_iiiiiiii.kd
    .uniform_work_group_size: 1
    .uses_dynamic_stack: false
    .vgpr_count:     8
    .vgpr_spill_count: 0
    .wavefront_size: 32
  - .args:
      - .actual_access:  read_only
        .address_space:  global
        .offset:         0
        .size:           8
        .value_kind:     global_buffer
      - .actual_access:  read_only
        .address_space:  global
        .offset:         8
        .size:           8
        .value_kind:     global_buffer
      - .actual_access:  write_only
        .address_space:  global
        .offset:         16
        .size:           8
        .value_kind:     global_buffer
      - .offset:         24
        .size:           4
        .value_kind:     by_value
      - .offset:         28
        .size:           4
        .value_kind:     by_value
      - .offset:         32
        .size:           4
        .value_kind:     by_value
      - .offset:         36
        .size:           4
        .value_kind:     by_value
      - .offset:         40
        .size:           4
        .value_kind:     by_value
      - .offset:         44
        .size:           4
        .value_kind:     by_value
      - .offset:         48
        .size:           4
        .value_kind:     by_value
      - .offset:         52
        .size:           4
        .value_kind:     by_value
    .group_segment_fixed_size: 0
    .kernarg_segment_align: 8
    .kernarg_segment_size: 56
    .language:       OpenCL C
    .language_version:
      - 2
      - 0
    .max_flat_workgroup_size: 1024
    .name:           _Z9conv3d_s3IfEvPKT_S2_PS0_iiiiiiii
    .private_segment_fixed_size: 0
    .sgpr_count:     27
    .sgpr_spill_count: 0
    .symbol:         _Z9conv3d_s3IfEvPKT_S2_PS0_iiiiiiii.kd
    .uniform_work_group_size: 1
    .uses_dynamic_stack: false
    .vgpr_count:     8
    .vgpr_spill_count: 0
    .wavefront_size: 32
amdhsa.target:   amdgcn-amd-amdhsa--gfx1250
amdhsa.version:
  - 1
  - 2
...

	.end_amdgpu_metadata
